;; amdgpu-corpus repo=ROCm/rocFFT kind=compiled arch=gfx906 opt=O3
	.text
	.amdgcn_target "amdgcn-amd-amdhsa--gfx906"
	.amdhsa_code_object_version 6
	.protected	bluestein_single_fwd_len297_dim1_sp_op_CI_CI ; -- Begin function bluestein_single_fwd_len297_dim1_sp_op_CI_CI
	.globl	bluestein_single_fwd_len297_dim1_sp_op_CI_CI
	.p2align	8
	.type	bluestein_single_fwd_len297_dim1_sp_op_CI_CI,@function
bluestein_single_fwd_len297_dim1_sp_op_CI_CI: ; @bluestein_single_fwd_len297_dim1_sp_op_CI_CI
; %bb.0:
	v_mul_u32_u24_e32 v1, 0x7c2, v0
	s_load_dwordx4 s[8:11], s[4:5], 0x28
	v_lshrrev_b32_e32 v1, 16, v1
	v_mad_u64_u32 v[56:57], s[0:1], s6, 7, v[1:2]
	v_mov_b32_e32 v57, 0
	s_waitcnt lgkmcnt(0)
	v_cmp_gt_u64_e32 vcc, s[8:9], v[56:57]
	s_and_saveexec_b64 s[0:1], vcc
	s_cbranch_execz .LBB0_10
; %bb.1:
	s_load_dwordx4 s[0:3], s[4:5], 0x18
	s_load_dwordx4 s[12:15], s[4:5], 0x0
	v_mul_lo_u16_e32 v1, 33, v1
	v_sub_u16_e32 v76, v0, v1
	v_lshlrev_b32_e32 v78, 3, v76
	s_waitcnt lgkmcnt(0)
	s_load_dwordx4 s[16:19], s[0:1], 0x0
                                        ; implicit-def: $vgpr73
	s_waitcnt lgkmcnt(0)
	v_mad_u64_u32 v[0:1], s[0:1], s18, v56, 0
	v_mad_u64_u32 v[2:3], s[0:1], s16, v76, 0
	;; [unrolled: 1-line block ×4, first 2 shown]
	v_mov_b32_e32 v1, v4
	v_lshlrev_b64 v[0:1], 3, v[0:1]
	v_mov_b32_e32 v6, s11
	v_mov_b32_e32 v3, v5
	v_add_co_u32_e32 v4, vcc, s10, v0
	v_addc_co_u32_e32 v5, vcc, v6, v1, vcc
	v_lshlrev_b64 v[0:1], 3, v[2:3]
	s_mul_i32 s0, s17, 0x108
	v_add_co_u32_e32 v0, vcc, v4, v0
	s_mul_hi_u32 s1, s16, 0x108
	v_addc_co_u32_e32 v1, vcc, v5, v1, vcc
	s_add_i32 s0, s1, s0
	s_mul_i32 s1, s16, 0x108
	global_load_dwordx2 v[2:3], v[0:1], off
	v_mov_b32_e32 v4, s0
	v_add_co_u32_e32 v0, vcc, s1, v0
	v_addc_co_u32_e32 v1, vcc, v1, v4, vcc
	v_mov_b32_e32 v5, s0
	v_add_co_u32_e32 v4, vcc, s1, v0
	v_addc_co_u32_e32 v5, vcc, v1, v5, vcc
	;; [unrolled: 3-line block ×4, first 2 shown]
	global_load_dwordx2 v[69:70], v78, s[12:13]
	global_load_dwordx2 v[67:68], v78, s[12:13] offset:264
	global_load_dwordx2 v[65:66], v78, s[12:13] offset:528
	;; [unrolled: 1-line block ×3, first 2 shown]
	global_load_dwordx2 v[10:11], v[0:1], off
	global_load_dwordx2 v[12:13], v[4:5], off
	;; [unrolled: 1-line block ×4, first 2 shown]
	v_mov_b32_e32 v1, s0
	v_add_co_u32_e32 v0, vcc, s1, v8
	v_addc_co_u32_e32 v1, vcc, v9, v1, vcc
	global_load_dwordx2 v[4:5], v[0:1], off
	global_load_dwordx2 v[63:64], v78, s[12:13] offset:1056
	global_load_dwordx2 v[57:58], v78, s[12:13] offset:1320
	v_mov_b32_e32 v6, s0
	v_add_co_u32_e32 v0, vcc, s1, v0
	v_addc_co_u32_e32 v1, vcc, v1, v6, vcc
	global_load_dwordx2 v[6:7], v[0:1], off
	v_mov_b32_e32 v8, s0
	v_add_co_u32_e32 v0, vcc, s1, v0
	v_addc_co_u32_e32 v1, vcc, v1, v8, vcc
	global_load_dwordx2 v[59:60], v78, s[12:13] offset:1584
	global_load_dwordx2 v[8:9], v[0:1], off
	global_load_dwordx2 v[54:55], v78, s[12:13] offset:1848
	v_mov_b32_e32 v18, s0
	v_add_co_u32_e32 v0, vcc, s1, v0
	v_addc_co_u32_e32 v1, vcc, v1, v18, vcc
	global_load_dwordx2 v[18:19], v[0:1], off
	global_load_dwordx2 v[52:53], v78, s[12:13] offset:2112
	s_mov_b32 s0, 0x24924925
	v_mul_hi_u32 v0, v56, s0
	s_load_dwordx4 s[8:11], s[2:3], 0x0
	s_mov_b32 s0, 0xbf248dbb
	v_add_co_u32_e32 v71, vcc, s12, v78
	v_sub_u32_e32 v1, v56, v0
	v_lshrrev_b32_e32 v1, 1, v1
	v_add_u32_e32 v0, v1, v0
	v_lshrrev_b32_e32 v0, 2, v0
	v_mul_lo_u32 v0, v0, 7
	s_load_dwordx2 s[2:3], s[4:5], 0x38
	v_sub_u32_e32 v0, v56, v0
	v_mul_u32_u24_e32 v0, 0x129, v0
	v_lshlrev_b32_e32 v77, 3, v0
	v_add_u32_e32 v75, v78, v77
	s_waitcnt vmcnt(16)
	v_mul_f32_e32 v0, v3, v70
	v_mul_f32_e32 v1, v2, v70
	v_fmac_f32_e32 v0, v2, v69
	v_fma_f32 v1, v3, v69, -v1
	s_waitcnt vmcnt(12)
	v_mul_f32_e32 v2, v11, v68
	v_mul_f32_e32 v3, v10, v68
	v_fmac_f32_e32 v2, v10, v67
	v_fma_f32 v3, v11, v67, -v3
	ds_write2_b64 v75, v[0:1], v[2:3] offset1:33
	s_waitcnt vmcnt(11)
	v_mul_f32_e32 v0, v13, v66
	v_mul_f32_e32 v1, v12, v66
	s_waitcnt vmcnt(10)
	v_mul_f32_e32 v2, v15, v62
	v_mul_f32_e32 v3, v14, v62
	v_fmac_f32_e32 v0, v12, v65
	v_fma_f32 v1, v13, v65, -v1
	v_fmac_f32_e32 v2, v14, v61
	v_fma_f32 v3, v15, v61, -v3
	ds_write2_b64 v75, v[0:1], v[2:3] offset0:66 offset1:99
	s_waitcnt vmcnt(7)
	v_mul_f32_e32 v0, v17, v64
	v_mul_f32_e32 v1, v16, v64
	s_waitcnt vmcnt(6)
	v_mul_f32_e32 v2, v5, v58
	v_mul_f32_e32 v3, v4, v58
	v_fmac_f32_e32 v0, v16, v63
	v_fma_f32 v1, v17, v63, -v1
	v_fmac_f32_e32 v2, v4, v57
	v_fma_f32 v3, v5, v57, -v3
	ds_write2_b64 v75, v[0:1], v[2:3] offset0:132 offset1:165
	;; [unrolled: 11-line block ×3, first 2 shown]
	s_waitcnt vmcnt(0)
	v_mul_f32_e32 v0, v19, v53
	v_mul_f32_e32 v1, v18, v53
	v_fmac_f32_e32 v0, v18, v52
	v_fma_f32 v1, v19, v52, -v1
	ds_write_b64 v75, v[0:1] offset:2112
	s_waitcnt lgkmcnt(0)
	s_barrier
	ds_read2_b64 v[0:3], v75 offset1:33
	ds_read_b64 v[16:17], v75 offset:2112
	ds_read2_b64 v[4:7], v75 offset0:66 offset1:99
	ds_read2_b64 v[8:11], v75 offset0:198 offset1:231
	;; [unrolled: 1-line block ×3, first 2 shown]
	s_waitcnt lgkmcnt(0)
	v_sub_f32_e32 v24, v2, v16
	v_sub_f32_e32 v25, v3, v17
	v_add_f32_e32 v20, v4, v10
	v_add_f32_e32 v21, v5, v11
	v_sub_f32_e32 v26, v4, v10
	v_sub_f32_e32 v27, v5, v11
	v_mul_f32_e32 v5, 0x3f248dbb, v24
	v_mul_f32_e32 v4, 0x3f248dbb, v25
	v_sub_f32_e32 v30, v12, v14
	v_sub_f32_e32 v31, v13, v15
	v_add_f32_e32 v22, v6, v8
	v_add_f32_e32 v23, v7, v9
	v_sub_f32_e32 v28, v6, v8
	v_sub_f32_e32 v29, v7, v9
	v_fmac_f32_e32 v5, 0x3f7c1c5c, v26
	v_fmac_f32_e32 v4, 0x3f7c1c5c, v27
	v_mul_f32_e32 v9, 0xbf248dbb, v30
	v_mul_f32_e32 v8, 0xbf248dbb, v31
	v_fmac_f32_e32 v5, 0x3f5db3d7, v28
	v_fmac_f32_e32 v4, 0x3f5db3d7, v29
	v_fmac_f32_e32 v9, 0x3f7c1c5c, v24
	v_fmac_f32_e32 v8, 0x3f7c1c5c, v25
	v_fmac_f32_e32 v5, 0x3eaf1d44, v30
	v_fmac_f32_e32 v4, 0x3eaf1d44, v31
	v_fmac_f32_e32 v9, 0xbf5db3d7, v28
	v_fmac_f32_e32 v8, 0xbf5db3d7, v29
	v_add_f32_e32 v10, v30, v24
	v_add_f32_e32 v11, v31, v25
	v_mul_f32_e32 v30, 0x3f7c1c5c, v30
	v_mul_f32_e32 v31, 0x3f7c1c5c, v31
	v_add_f32_e32 v18, v2, v16
	v_add_f32_e32 v19, v3, v17
	v_fmac_f32_e32 v9, 0x3eaf1d44, v26
	v_fmac_f32_e32 v8, 0x3eaf1d44, v27
	v_sub_f32_e32 v16, v10, v26
	v_sub_f32_e32 v17, v11, v27
	v_fma_f32 v26, v26, s0, -v30
	v_fma_f32 v27, v27, s0, -v31
	v_add_f32_e32 v36, v20, v18
	v_add_f32_e32 v37, v21, v19
	v_fmac_f32_e32 v26, 0x3f5db3d7, v28
	v_fmac_f32_e32 v27, 0x3f5db3d7, v29
	;; [unrolled: 1-line block ×4, first 2 shown]
	v_add_f32_e32 v24, v22, v36
	v_add_f32_e32 v25, v23, v37
	;; [unrolled: 1-line block ×6, first 2 shown]
	v_mov_b32_e32 v2, v0
	v_mov_b32_e32 v3, v1
	;; [unrolled: 1-line block ×4, first 2 shown]
	v_add_f32_e32 v12, v14, v12
	v_add_f32_e32 v13, v15, v13
	v_fmac_f32_e32 v2, 0x3f441b7d, v18
	v_fmac_f32_e32 v3, 0x3f441b7d, v19
	;; [unrolled: 1-line block ×4, first 2 shown]
	v_add_f32_e32 v10, v22, v0
	v_add_f32_e32 v11, v23, v1
	;; [unrolled: 1-line block ×4, first 2 shown]
	v_fmac_f32_e32 v0, 0x3f441b7d, v20
	v_fmac_f32_e32 v1, 0x3f441b7d, v21
	;; [unrolled: 1-line block ×8, first 2 shown]
	v_fmac_f32_e32 v2, -0.5, v22
	v_fmac_f32_e32 v3, -0.5, v23
	;; [unrolled: 1-line block ×4, first 2 shown]
	v_add_f32_e32 v38, v32, v36
	v_add_f32_e32 v39, v33, v37
	v_fmac_f32_e32 v0, -0.5, v22
	v_fmac_f32_e32 v1, -0.5, v23
	v_fmac_f32_e32 v2, 0xbf708fb2, v32
	v_fmac_f32_e32 v3, 0xbf708fb2, v33
	;; [unrolled: 1-line block ×4, first 2 shown]
	v_fmac_f32_e32 v10, -0.5, v38
	v_fmac_f32_e32 v11, -0.5, v39
	v_fmac_f32_e32 v0, 0xbf708fb2, v18
	v_fmac_f32_e32 v1, 0xbf708fb2, v19
	v_mul_lo_u16_e32 v18, 9, v76
	v_add_f32_e32 v2, v4, v2
	v_sub_f32_e32 v3, v3, v5
	v_add_f32_e32 v6, v6, v8
	v_sub_f32_e32 v7, v7, v9
	v_mul_f32_e32 v34, 0x3f5db3d7, v16
	v_mul_f32_e32 v35, 0x3f5db3d7, v17
	v_fmac_f32_e32 v10, 0x3f5db3d7, v17
	v_fmac_f32_e32 v11, 0xbf5db3d7, v16
	v_add_f32_e32 v0, v27, v0
	v_sub_f32_e32 v1, v1, v26
	v_lshl_add_u32 v79, v18, 3, v77
	v_fma_f32 v4, -2.0, v4, v2
	v_fma_f32 v5, 2.0, v5, v3
	v_fma_f32 v8, -2.0, v8, v6
	v_fma_f32 v9, 2.0, v9, v7
	;; [unrolled: 2-line block ×4, first 2 shown]
	s_barrier
	ds_write2_b64 v79, v[12:13], v[2:3] offset1:1
	ds_write2_b64 v79, v[6:7], v[10:11] offset0:2 offset1:3
	ds_write2_b64 v79, v[0:1], v[14:15] offset0:4 offset1:5
	;; [unrolled: 1-line block ×3, first 2 shown]
	ds_write_b64 v79, v[4:5] offset:64
	v_mov_b32_e32 v0, 57
	v_mul_lo_u16_sdwa v1, v76, v0 dst_sel:DWORD dst_unused:UNUSED_PAD src0_sel:BYTE_0 src1_sel:DWORD
	v_lshrrev_b16_e32 v18, 9, v1
	v_mul_lo_u16_e32 v1, 9, v18
	v_sub_u16_e32 v19, v76, v1
	v_lshlrev_b16_e32 v1, 1, v19
	v_and_b32_e32 v1, 0xfe, v1
	v_lshlrev_b32_e32 v1, 3, v1
	s_waitcnt lgkmcnt(0)
	s_barrier
	global_load_dwordx4 v[4:7], v1, s[14:15]
	v_add_u16_e32 v1, 33, v76
	v_mul_lo_u16_sdwa v2, v1, v0 dst_sel:DWORD dst_unused:UNUSED_PAD src0_sel:BYTE_0 src1_sel:DWORD
	v_lshrrev_b16_e32 v24, 9, v2
	v_mul_lo_u16_e32 v2, 9, v24
	v_sub_u16_e32 v25, v1, v2
	v_mov_b32_e32 v1, 4
	v_lshlrev_b32_sdwa v2, v1, v25 dst_sel:DWORD dst_unused:UNUSED_PAD src0_sel:DWORD src1_sel:BYTE_0
	global_load_dwordx4 v[8:11], v2, s[14:15]
	v_add_u16_e32 v2, 0x42, v76
	v_mul_lo_u16_sdwa v0, v2, v0 dst_sel:DWORD dst_unused:UNUSED_PAD src0_sel:BYTE_0 src1_sel:DWORD
	v_lshrrev_b16_e32 v26, 9, v0
	v_mul_lo_u16_e32 v0, 9, v26
	v_sub_u16_e32 v27, v2, v0
	v_lshlrev_b32_sdwa v0, v1, v27 dst_sel:DWORD dst_unused:UNUSED_PAD src0_sel:DWORD src1_sel:BYTE_0
	global_load_dwordx4 v[20:23], v0, s[14:15]
	v_mov_b32_e32 v0, s13
	v_addc_co_u32_e32 v72, vcc, 0, v0, vcc
	ds_read2_b64 v[40:43], v75 offset0:66 offset1:99
	ds_read2_b64 v[36:39], v75 offset1:33
	ds_read2_b64 v[0:3], v75 offset0:198 offset1:231
	ds_read2_b64 v[12:15], v75 offset0:132 offset1:165
	ds_read_b64 v[16:17], v75 offset:2112
	v_cmp_gt_u16_e32 vcc, 27, v76
	s_waitcnt vmcnt(0) lgkmcnt(0)
	s_barrier
	v_mul_f32_e32 v30, v1, v7
	v_fma_f32 v30, v0, v6, -v30
	v_mul_f32_e32 v0, v0, v7
	v_fmac_f32_e32 v0, v1, v6
	v_mul_f32_e32 v28, v43, v5
	v_fma_f32 v28, v42, v4, -v28
	v_mul_f32_e32 v29, v42, v5
	v_fmac_f32_e32 v29, v43, v4
	;; [unrolled: 4-line block ×6, first 2 shown]
	v_add_f32_e32 v17, v36, v28
	v_add_f32_e32 v32, v17, v30
	v_add_f32_e32 v17, v28, v30
	v_fma_f32 v44, -0.5, v17, v36
	v_sub_f32_e32 v17, v29, v0
	v_mov_b32_e32 v34, v44
	v_fmac_f32_e32 v34, 0x3f5db3d7, v17
	v_fmac_f32_e32 v44, 0xbf5db3d7, v17
	v_add_f32_e32 v17, v37, v29
	v_add_f32_e32 v33, v17, v0
	v_add_f32_e32 v0, v29, v0
	v_fma_f32 v45, -0.5, v0, v37
	v_sub_f32_e32 v0, v28, v30
	v_mov_b32_e32 v35, v45
	v_fmac_f32_e32 v35, 0xbf5db3d7, v0
	v_fmac_f32_e32 v45, 0x3f5db3d7, v0
	;; [unrolled: 8-line block ×3, first 2 shown]
	v_add_f32_e32 v0, v39, v12
	v_add_f32_e32 v47, v0, v2
	;; [unrolled: 1-line block ×3, first 2 shown]
	v_fmac_f32_e32 v39, -0.5, v0
	v_sub_f32_e32 v0, v1, v13
	v_mov_b32_e32 v37, v39
	v_fmac_f32_e32 v37, 0xbf5db3d7, v0
	v_fmac_f32_e32 v39, 0x3f5db3d7, v0
	v_add_f32_e32 v0, v40, v3
	v_add_f32_e32 v48, v0, v15
	;; [unrolled: 1-line block ×3, first 2 shown]
	v_fma_f32 v40, -0.5, v0, v40
	v_sub_f32_e32 v0, v14, v16
	v_mov_b32_e32 v50, v40
	v_fmac_f32_e32 v50, 0x3f5db3d7, v0
	v_fmac_f32_e32 v40, 0xbf5db3d7, v0
	v_add_f32_e32 v0, v41, v14
	v_add_f32_e32 v49, v0, v16
	;; [unrolled: 1-line block ×3, first 2 shown]
	v_fmac_f32_e32 v41, -0.5, v0
	v_sub_f32_e32 v0, v3, v15
	v_mov_b32_e32 v51, v41
	v_fmac_f32_e32 v51, 0xbf5db3d7, v0
	v_fmac_f32_e32 v41, 0x3f5db3d7, v0
	v_mad_legacy_u16 v0, v18, 27, v19
	v_and_b32_e32 v0, 0xff, v0
	v_lshl_add_u32 v80, v0, 3, v77
	v_mul_u32_u24_e32 v0, 27, v24
	v_add_u32_sdwa v0, v0, v25 dst_sel:DWORD dst_unused:UNUSED_PAD src0_sel:DWORD src1_sel:BYTE_0
	v_lshl_add_u32 v81, v0, 3, v77
	v_mul_u32_u24_e32 v0, 27, v26
	v_add_u32_sdwa v0, v0, v27 dst_sel:DWORD dst_unused:UNUSED_PAD src0_sel:DWORD src1_sel:BYTE_0
	v_lshl_add_u32 v82, v0, 3, v77
	ds_write2_b64 v80, v[32:33], v[34:35] offset1:9
	ds_write_b64 v80, v[44:45] offset:144
	ds_write2_b64 v81, v[46:47], v[36:37] offset1:9
	ds_write_b64 v81, v[38:39] offset:144
	ds_write2_b64 v82, v[48:49], v[50:51] offset1:9
	ds_write_b64 v82, v[40:41] offset:144
	s_waitcnt lgkmcnt(0)
	s_barrier
	s_and_saveexec_b64 s[0:1], vcc
	s_cbranch_execz .LBB0_3
; %bb.2:
	ds_read2_b64 v[32:35], v75 offset1:27
	ds_read2_b64 v[44:47], v75 offset0:54 offset1:81
	ds_read2_b64 v[36:39], v75 offset0:108 offset1:135
	ds_read2_b64 v[48:51], v75 offset0:162 offset1:189
	ds_read2_b64 v[40:43], v75 offset0:216 offset1:243
	ds_read_b64 v[73:74], v75 offset:2160
.LBB0_3:
	s_or_b64 exec, exec, s[0:1]
	v_subrev_u32_e32 v0, 27, v76
	v_cndmask_b32_e32 v0, v0, v76, vcc
	v_mul_hi_i32_i24_e32 v1, 0x50, v0
	v_mul_i32_i24_e32 v0, 0x50, v0
	v_mov_b32_e32 v2, s15
	v_add_co_u32_e64 v83, s[0:1], s14, v0
	v_addc_co_u32_e64 v84, s[0:1], v2, v1, s[0:1]
	global_load_dwordx4 v[24:27], v[83:84], off offset:144
	global_load_dwordx4 v[16:19], v[83:84], off offset:160
	;; [unrolled: 1-line block ×5, first 2 shown]
	s_mov_b32 s4, 0x3f575c64
	s_mov_b32 s5, 0x3ed4b147
	;; [unrolled: 1-line block ×5, first 2 shown]
	s_waitcnt vmcnt(4) lgkmcnt(5)
	v_mul_f32_e32 v83, v34, v25
	s_waitcnt lgkmcnt(4)
	v_mul_f32_e32 v84, v44, v27
	s_waitcnt vmcnt(2) lgkmcnt(2)
	v_mul_f32_e32 v88, v48, v3
	s_waitcnt vmcnt(1)
	v_mul_f32_e32 v99, v51, v13
	s_waitcnt vmcnt(0) lgkmcnt(0)
	v_mul_f32_e32 v93, v73, v31
	v_mul_f32_e32 v100, v41, v15
	;; [unrolled: 1-line block ×3, first 2 shown]
	v_fmac_f32_e32 v83, v35, v24
	v_fmac_f32_e32 v93, v74, v30
	v_mul_f32_e32 v92, v35, v25
	v_mul_f32_e32 v85, v46, v17
	;; [unrolled: 1-line block ×8, first 2 shown]
	v_fmac_f32_e32 v84, v45, v26
	v_fmac_f32_e32 v88, v49, v2
	v_fma_f32 v49, v50, v12, -v99
	v_fma_f32 v50, v40, v14, -v100
	v_fmac_f32_e32 v91, v43, v28
	v_sub_f32_e32 v100, v83, v93
	v_mul_f32_e32 v94, v45, v27
	v_mul_f32_e32 v95, v47, v17
	v_mul_f32_e32 v86, v36, v19
	v_fma_f32 v92, v34, v24, -v92
	v_fmac_f32_e32 v85, v47, v16
	v_fma_f32 v47, v38, v0, -v97
	v_fmac_f32_e32 v89, v51, v12
	v_fmac_f32_e32 v90, v41, v14
	v_fma_f32 v51, v42, v28, -v101
	v_fma_f32 v73, v73, v30, -v102
	v_sub_f32_e32 v101, v84, v91
	v_mul_f32_e32 v97, 0xbf0a6770, v100
	v_fma_f32 v94, v44, v26, -v94
	v_fmac_f32_e32 v86, v37, v18
	v_fma_f32 v48, v48, v2, -v98
	v_add_f32_e32 v34, v92, v73
	v_sub_f32_e32 v108, v92, v73
	v_sub_f32_e32 v102, v85, v90
	v_mul_f32_e32 v98, 0xbf68dda4, v101
	v_mov_b32_e32 v40, v97
	v_mul_f32_e32 v96, v37, v19
	v_fma_f32 v45, v46, v16, -v95
	v_add_f32_e32 v37, v83, v93
	v_add_f32_e32 v35, v94, v51
	v_sub_f32_e32 v109, v94, v51
	v_mul_f32_e32 v103, 0xbf0a6770, v108
	v_mul_f32_e32 v99, 0xbf7d64f0, v102
	v_mov_b32_e32 v42, v98
	v_fmac_f32_e32 v40, 0x3f575c64, v34
	v_sub_f32_e32 v114, v86, v89
	v_mul_f32_e32 v87, v38, v1
	v_fma_f32 v46, v36, v18, -v96
	v_add_f32_e32 v38, v84, v91
	v_add_f32_e32 v36, v45, v50
	v_sub_f32_e32 v110, v45, v50
	v_mul_f32_e32 v104, 0xbf68dda4, v109
	v_fma_f32 v41, v37, s4, -v103
	v_mov_b32_e32 v74, v99
	v_fmac_f32_e32 v42, 0x3ed4b147, v35
	v_add_f32_e32 v40, v32, v40
	v_mul_f32_e32 v106, 0xbf4178ce, v114
	v_fmac_f32_e32 v87, v39, v0
	v_add_f32_e32 v39, v85, v90
	v_add_f32_e32 v44, v46, v49
	v_mul_f32_e32 v105, 0xbf7d64f0, v110
	v_fma_f32 v43, v38, s5, -v104
	v_add_f32_e32 v41, v33, v41
	v_fmac_f32_e32 v74, 0xbe11bafb, v36
	v_add_f32_e32 v40, v42, v40
	v_sub_f32_e32 v117, v46, v49
	v_mov_b32_e32 v42, v106
	v_fma_f32 v95, v39, s7, -v105
	v_add_f32_e32 v41, v43, v41
	v_add_f32_e32 v40, v74, v40
	;; [unrolled: 1-line block ×3, first 2 shown]
	v_mul_f32_e32 v111, 0xbf4178ce, v117
	v_fmac_f32_e32 v42, 0xbf27a4f4, v44
	v_sub_f32_e32 v116, v87, v88
	v_add_f32_e32 v41, v95, v41
	v_add_f32_e32 v40, v42, v40
	v_fma_f32 v42, v74, s6, -v111
	v_mul_f32_e32 v112, 0xbe903f40, v116
	v_add_f32_e32 v41, v42, v41
	v_add_f32_e32 v95, v47, v48
	v_sub_f32_e32 v123, v47, v48
	v_mov_b32_e32 v42, v112
	v_add_f32_e32 v96, v87, v88
	v_mul_f32_e32 v113, 0xbe903f40, v123
	v_fmac_f32_e32 v42, 0xbf75a155, v95
	v_mul_f32_e32 v107, 0xbf68dda4, v100
	v_add_f32_e32 v40, v42, v40
	v_fma_f32 v42, v96, s14, -v113
	v_add_f32_e32 v41, v42, v41
	v_mov_b32_e32 v42, v107
	v_mul_f32_e32 v115, 0xbf4178ce, v101
	v_fmac_f32_e32 v42, 0x3ed4b147, v34
	v_mov_b32_e32 v43, v115
	v_add_f32_e32 v42, v32, v42
	v_fmac_f32_e32 v43, 0xbf27a4f4, v35
	v_mul_f32_e32 v120, 0xbf68dda4, v108
	v_add_f32_e32 v42, v43, v42
	v_fma_f32 v43, v37, s5, -v120
	v_mul_f32_e32 v121, 0xbf4178ce, v109
	v_add_f32_e32 v43, v33, v43
	v_fma_f32 v118, v38, s6, -v121
	v_add_f32_e32 v43, v118, v43
	v_mul_f32_e32 v118, 0x3e903f40, v102
	v_mov_b32_e32 v119, v118
	v_fmac_f32_e32 v119, 0xbf75a155, v36
	v_mul_f32_e32 v124, 0x3e903f40, v110
	v_add_f32_e32 v42, v119, v42
	v_fma_f32 v119, v39, s14, -v124
	v_add_f32_e32 v43, v119, v43
	v_mul_f32_e32 v119, 0x3f7d64f0, v114
	v_mov_b32_e32 v122, v119
	v_fmac_f32_e32 v122, 0xbe11bafb, v44
	;; [unrolled: 7-line block ×3, first 2 shown]
	v_add_f32_e32 v42, v126, v42
	v_mul_f32_e32 v126, 0x3f0a6770, v123
	v_fma_f32 v127, v96, s4, -v126
	v_add_f32_e32 v43, v127, v43
	s_and_saveexec_b64 s[0:1], vcc
	s_cbranch_execz .LBB0_5
; %bb.4:
	v_mul_f32_e32 v151, 0xbe903f40, v108
	v_mov_b32_e32 v127, v151
	v_mul_f32_e32 v152, 0x3f0a6770, v109
	v_fmac_f32_e32 v127, 0xbf75a155, v37
	v_mov_b32_e32 v128, v152
	v_add_f32_e32 v127, v33, v127
	v_fmac_f32_e32 v128, 0x3f575c64, v38
	v_mul_f32_e32 v153, 0xbf4178ce, v110
	v_add_f32_e32 v127, v128, v127
	v_mov_b32_e32 v128, v153
	v_fmac_f32_e32 v128, 0xbf27a4f4, v39
	v_mul_f32_e32 v154, 0x3f68dda4, v117
	v_add_f32_e32 v127, v128, v127
	v_mov_b32_e32 v128, v154
	;; [unrolled: 4-line block ×3, first 2 shown]
	v_fmac_f32_e32 v128, 0xbe11bafb, v96
	v_mul_f32_e32 v156, 0xbe903f40, v100
	v_add_f32_e32 v128, v128, v127
	v_fma_f32 v127, v34, s14, -v156
	v_mul_f32_e32 v157, 0x3f0a6770, v101
	v_add_f32_e32 v127, v32, v127
	v_fma_f32 v129, v35, s4, -v157
	v_mul_f32_e32 v158, 0xbf4178ce, v102
	v_add_f32_e32 v127, v129, v127
	v_fma_f32 v129, v36, s6, -v158
	v_mul_f32_e32 v159, 0x3f68dda4, v114
	v_add_f32_e32 v127, v129, v127
	v_fma_f32 v129, v44, s5, -v159
	v_mul_f32_e32 v160, 0xbf7d64f0, v116
	v_add_f32_e32 v127, v129, v127
	v_fma_f32 v129, v95, s7, -v160
	v_mul_f32_e32 v161, 0xbf4178ce, v108
	v_add_f32_e32 v127, v129, v127
	v_mov_b32_e32 v129, v161
	v_mul_f32_e32 v162, 0x3f7d64f0, v109
	v_fmac_f32_e32 v129, 0xbf27a4f4, v37
	v_mov_b32_e32 v130, v162
	v_add_f32_e32 v129, v33, v129
	v_fmac_f32_e32 v130, 0xbe11bafb, v38
	v_mul_f32_e32 v163, 0xbf0a6770, v110
	v_add_f32_e32 v129, v130, v129
	v_mov_b32_e32 v130, v163
	v_fmac_f32_e32 v130, 0x3f575c64, v39
	v_mul_f32_e32 v164, 0xbe903f40, v117
	v_add_f32_e32 v129, v130, v129
	v_mov_b32_e32 v130, v164
	;; [unrolled: 4-line block ×3, first 2 shown]
	v_fmac_f32_e32 v130, 0x3ed4b147, v96
	v_mul_f32_e32 v166, 0xbf4178ce, v100
	v_add_f32_e32 v130, v130, v129
	v_fma_f32 v129, v34, s6, -v166
	v_mul_f32_e32 v167, 0x3f7d64f0, v101
	v_add_f32_e32 v129, v32, v129
	v_fma_f32 v168, v35, s7, -v167
	v_add_f32_e32 v129, v168, v129
	v_mul_f32_e32 v168, 0xbf0a6770, v102
	v_fma_f32 v169, v36, s4, -v168
	v_add_f32_e32 v129, v169, v129
	v_mul_f32_e32 v169, 0xbe903f40, v114
	;; [unrolled: 3-line block ×3, first 2 shown]
	v_add_f32_e32 v83, v33, v83
	v_fma_f32 v171, v95, s5, -v170
	v_add_f32_e32 v83, v83, v84
	v_add_f32_e32 v129, v171, v129
	v_mul_f32_e32 v171, 0xbf7d64f0, v108
	v_add_f32_e32 v83, v83, v85
	v_mov_b32_e32 v108, v171
	v_mul_f32_e32 v172, 0x3e903f40, v109
	v_add_f32_e32 v83, v83, v86
	v_fmac_f32_e32 v108, 0xbe11bafb, v37
	v_mov_b32_e32 v109, v172
	v_add_f32_e32 v83, v83, v87
	v_add_f32_e32 v108, v33, v108
	v_fmac_f32_e32 v109, 0xbf75a155, v38
	v_mul_f32_e32 v110, 0x3f68dda4, v110
	v_add_f32_e32 v83, v83, v88
	v_add_f32_e32 v108, v109, v108
	v_mov_b32_e32 v109, v110
	v_mul_f32_e32 v173, 0xbf7d64f0, v100
	v_add_f32_e32 v83, v83, v89
	v_fmac_f32_e32 v109, 0x3ed4b147, v39
	v_mul_f32_e32 v117, 0xbf0a6770, v117
	v_fma_f32 v100, v34, s7, -v173
	v_mul_f32_e32 v174, 0x3e903f40, v101
	v_add_f32_e32 v83, v83, v90
	v_add_f32_e32 v108, v109, v108
	v_mov_b32_e32 v109, v117
	v_add_f32_e32 v100, v32, v100
	v_fma_f32 v101, v35, s14, -v174
	v_mul_f32_e32 v175, 0x3f68dda4, v102
	v_add_f32_e32 v83, v83, v91
	v_fmac_f32_e32 v109, 0x3f575c64, v74
	v_mul_f32_e32 v123, 0xbf4178ce, v123
	v_add_f32_e32 v100, v101, v100
	v_fma_f32 v101, v36, s5, -v175
	v_mul_f32_e32 v114, 0xbf0a6770, v114
	v_add_f32_e32 v84, v83, v93
	v_add_f32_e32 v83, v32, v92
	;; [unrolled: 1-line block ×3, first 2 shown]
	v_mov_b32_e32 v109, v123
	v_add_f32_e32 v100, v101, v100
	v_fma_f32 v101, v44, s4, -v114
	v_mul_f32_e32 v116, 0xbf4178ce, v116
	v_add_f32_e32 v83, v83, v94
	v_mul_f32_e32 v134, 0x3ed4b147, v37
	v_fmac_f32_e32 v109, 0xbf27a4f4, v96
	v_add_f32_e32 v100, v101, v100
	v_fma_f32 v101, v95, s6, -v116
	v_add_f32_e32 v45, v83, v45
	v_mul_f32_e32 v138, 0xbf27a4f4, v38
	v_add_f32_e32 v109, v109, v108
	v_add_f32_e32 v108, v101, v100
	;; [unrolled: 1-line block ×4, first 2 shown]
	v_mul_f32_e32 v142, 0xbf75a155, v39
	v_add_f32_e32 v100, v33, v100
	v_add_f32_e32 v101, v121, v138
	v_add_f32_e32 v45, v45, v47
	v_mul_f32_e32 v146, 0xbe11bafb, v74
	v_add_f32_e32 v100, v101, v100
	v_add_f32_e32 v101, v124, v142
	v_add_f32_e32 v45, v45, v48
	;; [unrolled: 4-line block ×4, first 2 shown]
	v_mul_f32_e32 v137, 0xbf27a4f4, v35
	v_add_f32_e32 v101, v101, v100
	v_sub_f32_e32 v100, v133, v107
	v_add_f32_e32 v45, v45, v51
	v_mul_f32_e32 v141, 0xbf75a155, v36
	v_add_f32_e32 v100, v32, v100
	v_sub_f32_e32 v102, v137, v115
	v_add_f32_e32 v83, v45, v73
	v_fma_f32 v45, v37, s14, -v151
	v_fma_f32 v47, v37, s6, -v161
	v_mul_f32_e32 v145, 0xbe11bafb, v44
	v_add_f32_e32 v100, v102, v100
	v_sub_f32_e32 v102, v141, v118
	v_add_f32_e32 v45, v33, v45
	v_fma_f32 v46, v38, s4, -v152
	v_add_f32_e32 v47, v33, v47
	v_fma_f32 v48, v38, s7, -v162
	v_mul_f32_e32 v149, 0x3f575c64, v95
	v_add_f32_e32 v100, v102, v100
	v_sub_f32_e32 v102, v145, v119
	v_add_f32_e32 v45, v46, v45
	v_fma_f32 v46, v39, s6, -v153
	v_add_f32_e32 v47, v48, v47
	v_fma_f32 v48, v39, s4, -v163
	v_mul_f32_e32 v131, 0x3f575c64, v34
	v_mul_f32_e32 v132, 0x3f575c64, v37
	v_add_f32_e32 v100, v102, v100
	v_sub_f32_e32 v102, v149, v122
	v_add_f32_e32 v45, v46, v45
	v_fma_f32 v46, v74, s5, -v154
	v_add_f32_e32 v47, v48, v47
	v_fma_f32 v48, v74, s14, -v164
	v_mul_f32_e32 v135, 0x3ed4b147, v35
	v_mul_f32_e32 v136, 0x3ed4b147, v38
	v_add_f32_e32 v100, v102, v100
	v_add_f32_e32 v102, v103, v132
	v_sub_f32_e32 v97, v131, v97
	v_add_f32_e32 v45, v46, v45
	v_fma_f32 v46, v96, s7, -v155
	v_fmac_f32_e32 v156, 0xbf75a155, v34
	v_add_f32_e32 v47, v48, v47
	v_fma_f32 v48, v96, s5, -v165
	v_fmac_f32_e32 v166, 0xbf27a4f4, v34
	v_fmac_f32_e32 v173, 0xbe11bafb, v34
	v_mul_f32_e32 v139, 0xbe11bafb, v36
	v_mul_f32_e32 v140, 0xbe11bafb, v39
	v_add_f32_e32 v102, v33, v102
	v_add_f32_e32 v103, v104, v136
	;; [unrolled: 1-line block ×3, first 2 shown]
	v_sub_f32_e32 v98, v135, v98
	v_add_f32_e32 v46, v46, v45
	v_add_f32_e32 v45, v32, v156
	;; [unrolled: 1-line block ×4, first 2 shown]
	v_fma_f32 v37, v37, s7, -v171
	v_add_f32_e32 v32, v32, v173
	v_fmac_f32_e32 v174, 0xbf75a155, v35
	v_mul_f32_e32 v143, 0xbf27a4f4, v44
	v_mul_f32_e32 v144, 0xbf27a4f4, v74
	v_add_f32_e32 v102, v103, v102
	v_add_f32_e32 v103, v105, v140
	;; [unrolled: 1-line block ×3, first 2 shown]
	v_sub_f32_e32 v98, v139, v99
	v_fmac_f32_e32 v157, 0x3f575c64, v35
	v_fmac_f32_e32 v167, 0xbe11bafb, v35
	v_add_f32_e32 v33, v33, v37
	v_fma_f32 v37, v38, s14, -v172
	v_add_f32_e32 v32, v174, v32
	v_fmac_f32_e32 v175, 0x3ed4b147, v36
	v_mul_f32_e32 v147, 0xbf75a155, v95
	v_mul_f32_e32 v148, 0xbf75a155, v96
	v_add_f32_e32 v102, v103, v102
	v_add_f32_e32 v103, v111, v144
	;; [unrolled: 1-line block ×3, first 2 shown]
	v_sub_f32_e32 v98, v143, v106
	v_add_f32_e32 v45, v157, v45
	v_fmac_f32_e32 v158, 0xbf27a4f4, v36
	v_add_f32_e32 v47, v167, v47
	v_fmac_f32_e32 v168, 0x3f575c64, v36
	v_add_f32_e32 v33, v37, v33
	v_fma_f32 v37, v39, s5, -v110
	v_add_f32_e32 v32, v175, v32
	v_fmac_f32_e32 v114, 0x3f575c64, v44
	v_add_f32_e32 v102, v103, v102
	v_add_f32_e32 v103, v113, v148
	;; [unrolled: 1-line block ×3, first 2 shown]
	v_sub_f32_e32 v98, v147, v112
	v_add_f32_e32 v45, v158, v45
	v_fmac_f32_e32 v159, 0x3ed4b147, v44
	v_add_f32_e32 v47, v168, v47
	v_fmac_f32_e32 v169, 0xbf75a155, v44
	v_add_f32_e32 v33, v37, v33
	v_fma_f32 v37, v74, s4, -v117
	v_add_f32_e32 v32, v114, v32
	v_fmac_f32_e32 v116, 0xbf27a4f4, v95
	v_add_f32_e32 v103, v103, v102
	v_add_f32_e32 v102, v98, v97
	;; [unrolled: 1-line block ×3, first 2 shown]
	v_fmac_f32_e32 v160, 0xbe11bafb, v95
	v_add_f32_e32 v47, v169, v47
	v_fmac_f32_e32 v170, 0x3ed4b147, v95
	v_add_f32_e32 v33, v37, v33
	v_fma_f32 v37, v96, s6, -v123
	v_add_f32_e32 v32, v116, v32
	v_lshl_add_u32 v34, v76, 3, v77
	v_add_f32_e32 v45, v160, v45
	v_add_f32_e32 v47, v170, v47
	;; [unrolled: 1-line block ×3, first 2 shown]
	ds_write_b64 v75, v[83:84]
	ds_write2_b64 v34, v[102:103], v[100:101] offset0:27 offset1:54
	ds_write2_b64 v34, v[108:109], v[129:130] offset0:81 offset1:108
	;; [unrolled: 1-line block ×4, first 2 shown]
	v_add_u32_e32 v32, 0x400, v34
	ds_write2_b64 v32, v[42:43], v[40:41] offset0:115 offset1:142
.LBB0_5:
	s_or_b64 exec, exec, s[0:1]
	s_waitcnt lgkmcnt(0)
	s_barrier
	global_load_dwordx2 v[71:72], v[71:72], off offset:2376
	s_add_u32 s0, s12, 0x948
	s_addc_u32 s1, s13, 0
	global_load_dwordx2 v[73:74], v78, s[0:1] offset:264
	global_load_dwordx2 v[83:84], v78, s[0:1] offset:528
	global_load_dwordx2 v[85:86], v78, s[0:1] offset:792
	global_load_dwordx2 v[87:88], v78, s[0:1] offset:1056
	global_load_dwordx2 v[89:90], v78, s[0:1] offset:1320
	global_load_dwordx2 v[91:92], v78, s[0:1] offset:1584
	global_load_dwordx2 v[93:94], v78, s[0:1] offset:1848
	global_load_dwordx2 v[95:96], v78, s[0:1] offset:2112
	ds_read2_b64 v[32:35], v75 offset1:33
	ds_read2_b64 v[36:39], v75 offset0:66 offset1:99
	ds_read2_b64 v[44:47], v75 offset0:132 offset1:165
	ds_read2_b64 v[48:51], v75 offset0:198 offset1:231
	ds_read_b64 v[97:98], v75 offset:2112
	s_mov_b32 s0, 0xbf248dbb
	s_waitcnt vmcnt(4) lgkmcnt(2)
	v_mul_f32_e32 v101, v45, v88
	v_mul_f32_e32 v78, v33, v72
	;; [unrolled: 1-line block ×3, first 2 shown]
	v_fma_f32 v99, v32, v71, -v78
	v_fmac_f32_e32 v100, v33, v71
	v_mul_f32_e32 v32, v35, v74
	v_mul_f32_e32 v33, v34, v74
	;; [unrolled: 1-line block ×7, first 2 shown]
	s_waitcnt vmcnt(3)
	v_mul_f32_e32 v102, v47, v90
	v_mul_f32_e32 v86, v46, v90
	s_waitcnt vmcnt(2) lgkmcnt(1)
	v_mul_f32_e32 v103, v49, v92
	v_mul_f32_e32 v88, v48, v92
	s_waitcnt vmcnt(1)
	v_mul_f32_e32 v104, v51, v94
	v_mul_f32_e32 v90, v50, v94
	s_waitcnt vmcnt(0) lgkmcnt(0)
	v_mul_f32_e32 v94, v98, v96
	v_mul_f32_e32 v92, v97, v96
	v_fma_f32 v32, v34, v73, -v32
	v_fmac_f32_e32 v33, v35, v73
	v_fma_f32 v71, v36, v83, -v71
	v_fmac_f32_e32 v72, v37, v83
	;; [unrolled: 2-line block ×8, first 2 shown]
	ds_write2_b64 v75, v[99:100], v[32:33] offset1:33
	ds_write2_b64 v75, v[71:72], v[73:74] offset0:66 offset1:99
	ds_write2_b64 v75, v[83:84], v[85:86] offset0:132 offset1:165
	;; [unrolled: 1-line block ×3, first 2 shown]
	ds_write_b64 v75, v[91:92] offset:2112
	s_waitcnt lgkmcnt(0)
	s_barrier
	ds_read2_b64 v[32:35], v75 offset1:33
	ds_read_b64 v[71:72], v75 offset:2112
	ds_read2_b64 v[36:39], v75 offset0:66 offset1:99
	ds_read2_b64 v[44:47], v75 offset0:198 offset1:231
	;; [unrolled: 1-line block ×3, first 2 shown]
	s_waitcnt lgkmcnt(0)
	v_sub_f32_e32 v86, v34, v71
	v_sub_f32_e32 v87, v35, v72
	v_add_f32_e32 v78, v36, v46
	v_add_f32_e32 v83, v37, v47
	v_sub_f32_e32 v88, v36, v46
	v_sub_f32_e32 v89, v37, v47
	v_sub_f32_e32 v92, v48, v50
	v_sub_f32_e32 v93, v49, v51
	v_mul_f32_e32 v37, 0x3f248dbb, v86
	v_mul_f32_e32 v36, 0x3f248dbb, v87
	v_add_f32_e32 v84, v38, v44
	v_add_f32_e32 v85, v39, v45
	v_sub_f32_e32 v90, v38, v44
	v_sub_f32_e32 v91, v39, v45
	v_fmac_f32_e32 v37, 0x3f7c1c5c, v88
	v_fmac_f32_e32 v36, 0x3f7c1c5c, v89
	v_mul_f32_e32 v45, 0xbf248dbb, v92
	v_mul_f32_e32 v44, 0xbf248dbb, v93
	v_fmac_f32_e32 v37, 0x3f5db3d7, v90
	v_fmac_f32_e32 v36, 0x3f5db3d7, v91
	;; [unrolled: 1-line block ×8, first 2 shown]
	v_add_f32_e32 v46, v92, v86
	v_add_f32_e32 v47, v93, v87
	v_mul_f32_e32 v92, 0x3f7c1c5c, v92
	v_mul_f32_e32 v93, 0x3f7c1c5c, v93
	v_add_f32_e32 v73, v34, v71
	v_add_f32_e32 v74, v35, v72
	v_fmac_f32_e32 v45, 0x3eaf1d44, v88
	v_fmac_f32_e32 v44, 0x3eaf1d44, v89
	v_sub_f32_e32 v71, v46, v88
	v_sub_f32_e32 v72, v47, v89
	v_fma_f32 v88, v88, s0, -v92
	v_fma_f32 v89, v89, s0, -v93
	v_add_f32_e32 v98, v78, v73
	v_add_f32_e32 v99, v83, v74
	v_fmac_f32_e32 v88, 0x3f5db3d7, v90
	v_fmac_f32_e32 v89, 0x3f5db3d7, v91
	;; [unrolled: 1-line block ×4, first 2 shown]
	v_add_f32_e32 v86, v84, v98
	v_add_f32_e32 v87, v85, v99
	;; [unrolled: 1-line block ×6, first 2 shown]
	v_mov_b32_e32 v34, v32
	v_mov_b32_e32 v35, v33
	;; [unrolled: 1-line block ×4, first 2 shown]
	v_add_f32_e32 v48, v50, v48
	v_add_f32_e32 v49, v51, v49
	v_fmac_f32_e32 v34, 0x3f441b7d, v73
	v_fmac_f32_e32 v35, 0x3f441b7d, v74
	;; [unrolled: 1-line block ×4, first 2 shown]
	v_add_f32_e32 v46, v84, v32
	v_add_f32_e32 v47, v85, v33
	v_add_f32_e32 v48, v48, v32
	v_add_f32_e32 v49, v49, v33
	v_fmac_f32_e32 v32, 0x3f441b7d, v78
	v_fmac_f32_e32 v33, 0x3f441b7d, v83
	;; [unrolled: 1-line block ×8, first 2 shown]
	v_fmac_f32_e32 v34, -0.5, v84
	v_fmac_f32_e32 v35, -0.5, v85
	;; [unrolled: 1-line block ×4, first 2 shown]
	v_add_f32_e32 v100, v94, v98
	v_add_f32_e32 v101, v95, v99
	v_fmac_f32_e32 v32, -0.5, v84
	v_fmac_f32_e32 v33, -0.5, v85
	v_fmac_f32_e32 v34, 0xbf708fb2, v94
	v_fmac_f32_e32 v35, 0xbf708fb2, v95
	;; [unrolled: 1-line block ×4, first 2 shown]
	v_fmac_f32_e32 v46, -0.5, v100
	v_fmac_f32_e32 v47, -0.5, v101
	v_fmac_f32_e32 v32, 0xbf708fb2, v73
	v_fmac_f32_e32 v33, 0xbf708fb2, v74
	v_sub_f32_e32 v34, v34, v36
	v_add_f32_e32 v35, v37, v35
	v_sub_f32_e32 v38, v38, v44
	v_add_f32_e32 v39, v45, v39
	v_mul_f32_e32 v96, 0x3f5db3d7, v71
	v_mul_f32_e32 v97, 0x3f5db3d7, v72
	v_fmac_f32_e32 v46, 0xbf5db3d7, v72
	v_fmac_f32_e32 v47, 0x3f5db3d7, v71
	v_sub_f32_e32 v32, v32, v89
	v_add_f32_e32 v33, v88, v33
	v_fma_f32 v36, 2.0, v36, v34
	v_fma_f32 v37, -2.0, v37, v35
	v_fma_f32 v44, 2.0, v44, v38
	v_fma_f32 v45, -2.0, v45, v39
	;; [unrolled: 2-line block ×4, first 2 shown]
	s_barrier
	ds_write2_b64 v79, v[48:49], v[34:35] offset1:1
	ds_write2_b64 v79, v[38:39], v[46:47] offset0:2 offset1:3
	ds_write2_b64 v79, v[32:33], v[50:51] offset0:4 offset1:5
	;; [unrolled: 1-line block ×3, first 2 shown]
	ds_write_b64 v79, v[36:37] offset:64
	s_waitcnt lgkmcnt(0)
	s_barrier
	ds_read2_b64 v[36:39], v75 offset0:66 offset1:99
	ds_read2_b64 v[32:35], v75 offset1:33
	ds_read2_b64 v[44:47], v75 offset0:198 offset1:231
	ds_read2_b64 v[48:51], v75 offset0:132 offset1:165
	ds_read_b64 v[71:72], v75 offset:2112
	s_waitcnt lgkmcnt(4)
	v_mul_f32_e32 v73, v5, v39
	v_mul_f32_e32 v5, v5, v38
	v_fmac_f32_e32 v73, v4, v38
	v_fma_f32 v38, v4, v39, -v5
	s_waitcnt lgkmcnt(2)
	v_mul_f32_e32 v39, v7, v45
	v_fmac_f32_e32 v39, v6, v44
	v_mul_f32_e32 v4, v7, v44
	v_fma_f32 v7, v6, v45, -v4
	s_waitcnt lgkmcnt(1)
	v_mul_f32_e32 v44, v9, v49
	v_mul_f32_e32 v4, v9, v48
	v_add_f32_e32 v5, v73, v39
	v_fmac_f32_e32 v44, v8, v48
	v_fma_f32 v45, v8, v49, -v4
	v_fma_f32 v8, -0.5, v5, v32
	v_sub_f32_e32 v5, v38, v7
	v_mov_b32_e32 v6, v8
	v_fmac_f32_e32 v6, 0xbf5db3d7, v5
	v_fmac_f32_e32 v8, 0x3f5db3d7, v5
	v_add_f32_e32 v5, v33, v38
	v_mul_f32_e32 v48, v11, v47
	v_add_f32_e32 v5, v5, v7
	v_add_f32_e32 v7, v38, v7
	v_fmac_f32_e32 v48, v10, v46
	v_mul_f32_e32 v4, v11, v46
	v_fma_f32 v9, -0.5, v7, v33
	v_fma_f32 v46, v10, v47, -v4
	v_mul_f32_e32 v4, v21, v50
	v_sub_f32_e32 v10, v73, v39
	v_mov_b32_e32 v7, v9
	v_add_f32_e32 v11, v44, v48
	v_mul_f32_e32 v47, v21, v51
	v_fma_f32 v49, v20, v51, -v4
	s_waitcnt lgkmcnt(0)
	v_mul_f32_e32 v4, v23, v71
	v_fmac_f32_e32 v7, 0x3f5db3d7, v10
	v_fmac_f32_e32 v9, 0xbf5db3d7, v10
	v_add_f32_e32 v10, v34, v44
	v_fma_f32 v34, -0.5, v11, v34
	v_fmac_f32_e32 v47, v20, v50
	v_mul_f32_e32 v50, v23, v72
	v_fma_f32 v23, v22, v72, -v4
	v_add_f32_e32 v4, v32, v73
	v_sub_f32_e32 v11, v45, v46
	v_mov_b32_e32 v32, v34
	v_add_f32_e32 v20, v45, v46
	v_fmac_f32_e32 v50, v22, v71
	v_fmac_f32_e32 v32, 0xbf5db3d7, v11
	v_fmac_f32_e32 v34, 0x3f5db3d7, v11
	v_add_f32_e32 v11, v35, v45
	v_fmac_f32_e32 v35, -0.5, v20
	v_sub_f32_e32 v20, v44, v48
	v_mov_b32_e32 v33, v35
	v_add_f32_e32 v21, v47, v50
	v_fmac_f32_e32 v33, 0x3f5db3d7, v20
	v_fmac_f32_e32 v35, 0xbf5db3d7, v20
	v_add_f32_e32 v20, v36, v47
	v_fma_f32 v36, -0.5, v21, v36
	v_sub_f32_e32 v21, v49, v23
	v_mov_b32_e32 v22, v36
	v_fmac_f32_e32 v22, 0xbf5db3d7, v21
	v_fmac_f32_e32 v36, 0x3f5db3d7, v21
	v_add_f32_e32 v21, v37, v49
	v_add_f32_e32 v21, v21, v23
	;; [unrolled: 1-line block ×3, first 2 shown]
	v_fmac_f32_e32 v37, -0.5, v23
	v_sub_f32_e32 v38, v47, v50
	v_mov_b32_e32 v23, v37
	v_add_f32_e32 v4, v4, v39
	v_add_f32_e32 v10, v10, v48
	;; [unrolled: 1-line block ×4, first 2 shown]
	v_fmac_f32_e32 v23, 0x3f5db3d7, v38
	v_fmac_f32_e32 v37, 0xbf5db3d7, v38
	s_barrier
	ds_write2_b64 v80, v[4:5], v[6:7] offset1:9
	ds_write_b64 v80, v[8:9] offset:144
	ds_write2_b64 v81, v[10:11], v[32:33] offset1:9
	ds_write_b64 v81, v[34:35] offset:144
	;; [unrolled: 2-line block ×3, first 2 shown]
	s_waitcnt lgkmcnt(0)
	s_barrier
	s_and_saveexec_b64 s[0:1], vcc
	s_cbranch_execz .LBB0_7
; %bb.6:
	ds_read2_b64 v[4:7], v75 offset1:27
	ds_read2_b64 v[8:11], v75 offset0:54 offset1:81
	ds_read2_b64 v[32:35], v75 offset0:108 offset1:135
	;; [unrolled: 1-line block ×4, first 2 shown]
	ds_read_b64 v[40:41], v75 offset:2160
	s_waitcnt lgkmcnt(2)
	v_mov_b32_e32 v42, v38
	v_mov_b32_e32 v43, v39
.LBB0_7:
	s_or_b64 exec, exec, s[0:1]
	s_and_saveexec_b64 s[0:1], vcc
	s_cbranch_execz .LBB0_9
; %bb.8:
	v_mul_f32_e32 v39, v25, v6
	s_waitcnt lgkmcnt(0)
	v_mul_f32_e32 v38, v31, v40
	v_fma_f32 v39, v24, v7, -v39
	v_mul_f32_e32 v25, v25, v7
	v_mul_f32_e32 v7, v29, v42
	v_fma_f32 v38, v30, v41, -v38
	v_fmac_f32_e32 v25, v24, v6
	v_mul_f32_e32 v24, v31, v41
	v_fma_f32 v31, v28, v43, -v7
	v_mul_f32_e32 v7, v27, v8
	v_add_f32_e32 v44, v38, v39
	v_fmac_f32_e32 v24, v30, v40
	v_fma_f32 v40, v26, v9, -v7
	v_mul_f32_e32 v27, v27, v9
	v_mul_f32_e32 v45, 0xbf75a155, v44
	v_add_f32_e32 v41, v31, v40
	v_fmac_f32_e32 v27, v26, v8
	v_mul_f32_e32 v26, v29, v43
	v_sub_f32_e32 v30, v25, v24
	v_mov_b32_e32 v6, v45
	v_mul_f32_e32 v46, 0x3f575c64, v41
	v_fmac_f32_e32 v26, v28, v42
	v_fmac_f32_e32 v6, 0x3e903f40, v30
	v_sub_f32_e32 v28, v27, v26
	v_mov_b32_e32 v7, v46
	v_add_f32_e32 v6, v5, v6
	v_fmac_f32_e32 v7, 0xbf0a6770, v28
	v_add_f32_e32 v6, v7, v6
	v_mul_f32_e32 v7, v15, v36
	v_fma_f32 v29, v14, v37, -v7
	v_mul_f32_e32 v7, v17, v10
	v_fma_f32 v42, v16, v11, -v7
	v_add_f32_e32 v43, v29, v42
	v_mul_f32_e32 v17, v17, v11
	v_mul_f32_e32 v15, v15, v37
	;; [unrolled: 1-line block ×3, first 2 shown]
	v_fmac_f32_e32 v17, v16, v10
	v_fmac_f32_e32 v15, v14, v36
	v_sub_f32_e32 v36, v17, v15
	v_mov_b32_e32 v7, v47
	v_fmac_f32_e32 v7, 0x3f4178ce, v36
	v_add_f32_e32 v6, v7, v6
	v_mul_f32_e32 v7, v13, v22
	v_fma_f32 v14, v12, v23, -v7
	v_mul_f32_e32 v7, v19, v32
	v_fma_f32 v16, v18, v33, -v7
	v_mul_f32_e32 v19, v19, v33
	v_add_f32_e32 v10, v14, v16
	v_fmac_f32_e32 v19, v18, v32
	v_mul_f32_e32 v18, v13, v23
	v_mul_f32_e32 v37, 0x3ed4b147, v10
	v_fmac_f32_e32 v18, v12, v22
	v_sub_f32_e32 v22, v19, v18
	v_mov_b32_e32 v7, v37
	v_fmac_f32_e32 v7, 0xbf68dda4, v22
	v_add_f32_e32 v6, v7, v6
	v_mul_f32_e32 v7, v3, v20
	v_fma_f32 v12, v2, v21, -v7
	v_mul_f32_e32 v7, v1, v34
	v_fma_f32 v13, v0, v35, -v7
	v_add_f32_e32 v11, v12, v13
	v_mul_f32_e32 v32, v1, v35
	v_mul_f32_e32 v21, v3, v21
	;; [unrolled: 1-line block ×3, first 2 shown]
	v_fmac_f32_e32 v32, v0, v34
	v_fmac_f32_e32 v21, v2, v20
	v_sub_f32_e32 v33, v32, v21
	v_mov_b32_e32 v0, v23
	v_sub_f32_e32 v20, v39, v38
	v_fmac_f32_e32 v0, 0x3f7d64f0, v33
	v_mul_f32_e32 v35, 0xbe903f40, v20
	v_sub_f32_e32 v49, v40, v31
	v_add_f32_e32 v1, v0, v6
	v_add_f32_e32 v34, v24, v25
	v_mov_b32_e32 v0, v35
	v_mul_f32_e32 v50, 0x3f0a6770, v49
	v_fmac_f32_e32 v0, 0xbf75a155, v34
	v_add_f32_e32 v48, v26, v27
	v_mov_b32_e32 v2, v50
	v_sub_f32_e32 v71, v42, v29
	v_add_f32_e32 v0, v4, v0
	v_fmac_f32_e32 v2, 0x3f575c64, v48
	v_mul_f32_e32 v72, 0xbf4178ce, v71
	v_add_f32_e32 v0, v2, v0
	v_add_f32_e32 v51, v15, v17
	v_mov_b32_e32 v2, v72
	v_sub_f32_e32 v74, v16, v14
	v_fmac_f32_e32 v2, 0xbf27a4f4, v51
	v_mul_f32_e32 v78, 0x3f68dda4, v74
	v_add_f32_e32 v0, v2, v0
	v_add_f32_e32 v73, v18, v19
	v_mov_b32_e32 v2, v78
	v_sub_f32_e32 v80, v13, v12
	v_fmac_f32_e32 v2, 0x3ed4b147, v73
	v_mul_f32_e32 v81, 0xbf7d64f0, v80
	v_add_f32_e32 v0, v2, v0
	v_add_f32_e32 v79, v21, v32
	v_mov_b32_e32 v2, v81
	v_fmac_f32_e32 v2, 0xbe11bafb, v79
	v_mul_f32_e32 v82, 0xbf27a4f4, v44
	v_add_f32_e32 v0, v2, v0
	v_mov_b32_e32 v2, v82
	v_mul_f32_e32 v83, 0xbe11bafb, v41
	v_fmac_f32_e32 v2, 0x3f4178ce, v30
	v_mov_b32_e32 v3, v83
	v_add_f32_e32 v2, v5, v2
	v_fmac_f32_e32 v3, 0xbf7d64f0, v28
	v_mul_f32_e32 v84, 0x3f575c64, v43
	v_add_f32_e32 v2, v3, v2
	v_mov_b32_e32 v3, v84
	v_fmac_f32_e32 v3, 0x3f0a6770, v36
	v_mul_f32_e32 v85, 0xbf75a155, v10
	v_add_f32_e32 v2, v3, v2
	v_mov_b32_e32 v3, v85
	v_fmac_f32_e32 v3, 0x3e903f40, v22
	v_mul_f32_e32 v86, 0x3ed4b147, v11
	v_add_f32_e32 v2, v3, v2
	v_mov_b32_e32 v3, v86
	v_fmac_f32_e32 v3, 0xbf68dda4, v33
	v_mul_f32_e32 v87, 0xbf4178ce, v20
	v_add_f32_e32 v3, v3, v2
	v_mov_b32_e32 v2, v87
	v_mul_f32_e32 v88, 0x3f7d64f0, v49
	v_fmac_f32_e32 v2, 0xbf27a4f4, v34
	v_mov_b32_e32 v6, v88
	v_add_f32_e32 v2, v4, v2
	v_fmac_f32_e32 v6, 0xbe11bafb, v48
	v_mul_f32_e32 v89, 0xbf0a6770, v71
	v_add_f32_e32 v2, v6, v2
	v_mov_b32_e32 v6, v89
	v_fmac_f32_e32 v6, 0x3f575c64, v51
	v_mul_f32_e32 v90, 0xbe903f40, v74
	v_add_f32_e32 v2, v6, v2
	v_mov_b32_e32 v6, v90
	v_fmac_f32_e32 v6, 0xbf75a155, v73
	v_mul_f32_e32 v91, 0x3f68dda4, v80
	;; [unrolled: 20-line block ×5, first 2 shown]
	v_add_f32_e32 v8, v9, v8
	v_mov_b32_e32 v9, v106
	v_fmac_f32_e32 v9, 0xbf0a6770, v33
	v_mul_f32_e32 v107, 0xbf68dda4, v20
	v_add_f32_e32 v9, v9, v8
	v_mov_b32_e32 v8, v107
	v_mul_f32_e32 v108, 0xbf4178ce, v49
	v_fmac_f32_e32 v8, 0x3ed4b147, v34
	v_mov_b32_e32 v109, v108
	v_add_f32_e32 v8, v4, v8
	v_fmac_f32_e32 v109, 0xbf27a4f4, v48
	v_add_f32_e32 v8, v109, v8
	v_mul_f32_e32 v109, 0x3e903f40, v71
	v_mov_b32_e32 v110, v109
	v_fmac_f32_e32 v110, 0xbf75a155, v51
	v_add_f32_e32 v8, v110, v8
	v_mul_f32_e32 v110, 0x3f7d64f0, v74
	v_mov_b32_e32 v111, v110
	;; [unrolled: 4-line block ×3, first 2 shown]
	v_fmac_f32_e32 v112, 0x3f575c64, v79
	v_mul_f32_e32 v44, 0x3f575c64, v44
	v_add_f32_e32 v8, v112, v8
	v_mov_b32_e32 v112, v44
	v_mul_f32_e32 v41, 0x3ed4b147, v41
	v_fmac_f32_e32 v112, 0x3f0a6770, v30
	v_mov_b32_e32 v113, v41
	v_add_f32_e32 v112, v5, v112
	v_fmac_f32_e32 v113, 0x3f68dda4, v28
	v_mul_f32_e32 v43, 0xbe11bafb, v43
	v_add_f32_e32 v112, v113, v112
	v_mov_b32_e32 v113, v43
	v_fmac_f32_e32 v113, 0x3f7d64f0, v36
	v_add_f32_e32 v112, v113, v112
	v_mul_f32_e32 v113, 0xbf27a4f4, v10
	v_mov_b32_e32 v10, v113
	v_fmac_f32_e32 v10, 0x3f4178ce, v22
	v_add_f32_e32 v10, v10, v112
	v_mul_f32_e32 v112, 0xbf75a155, v11
	v_mov_b32_e32 v11, v112
	v_fmac_f32_e32 v11, 0x3e903f40, v33
	v_mul_f32_e32 v114, 0xbf0a6770, v20
	v_add_f32_e32 v11, v11, v10
	v_mov_b32_e32 v10, v114
	v_mul_f32_e32 v49, 0xbf68dda4, v49
	v_fmac_f32_e32 v10, 0x3f575c64, v34
	v_mov_b32_e32 v20, v49
	v_add_f32_e32 v10, v4, v10
	v_fmac_f32_e32 v20, 0x3ed4b147, v48
	v_mul_f32_e32 v71, 0xbf7d64f0, v71
	v_add_f32_e32 v10, v20, v10
	v_mov_b32_e32 v20, v71
	v_fmac_f32_e32 v20, 0xbe11bafb, v51
	v_mul_f32_e32 v74, 0xbf4178ce, v74
	v_add_f32_e32 v10, v20, v10
	v_mov_b32_e32 v20, v74
	;; [unrolled: 4-line block ×3, first 2 shown]
	v_fmac_f32_e32 v20, 0xbf75a155, v79
	v_add_f32_e32 v10, v20, v10
	v_add_f32_e32 v20, v39, v5
	;; [unrolled: 1-line block ×14, first 2 shown]
	v_fmac_f32_e32 v45, 0xbe903f40, v30
	v_add_f32_e32 v12, v19, v12
	v_add_f32_e32 v14, v5, v45
	v_fmac_f32_e32 v46, 0x3f0a6770, v28
	v_add_f32_e32 v12, v32, v12
	v_add_f32_e32 v14, v46, v14
	;; [unrolled: 3-line block ×3, first 2 shown]
	v_fmac_f32_e32 v37, 0x3f68dda4, v22
	s_mov_b32 s4, 0xbf75a155
	v_add_f32_e32 v12, v18, v12
	v_add_f32_e32 v14, v37, v14
	v_fmac_f32_e32 v23, 0xbf7d64f0, v33
	s_mov_b32 s5, 0x3f575c64
	v_add_f32_e32 v12, v15, v12
	v_add_f32_e32 v15, v23, v14
	v_fma_f32 v14, v34, s4, -v35
	v_add_f32_e32 v14, v4, v14
	v_fma_f32 v16, v48, s5, -v50
	s_mov_b32 s7, 0x3ed4b147
	v_add_f32_e32 v14, v16, v14
	v_fma_f32 v16, v51, s6, -v72
	s_mov_b32 s12, 0xbe11bafb
	v_add_f32_e32 v14, v16, v14
	v_fma_f32 v16, v73, s7, -v78
	v_add_f32_e32 v14, v16, v14
	v_fma_f32 v16, v79, s12, -v81
	v_fmac_f32_e32 v82, 0xbf4178ce, v30
	v_add_f32_e32 v14, v16, v14
	v_add_f32_e32 v16, v5, v82
	v_fmac_f32_e32 v83, 0x3f7d64f0, v28
	v_add_f32_e32 v16, v83, v16
	v_fmac_f32_e32 v84, 0xbf0a6770, v36
	;; [unrolled: 2-line block ×4, first 2 shown]
	v_add_f32_e32 v17, v86, v16
	v_fma_f32 v16, v34, s6, -v87
	v_add_f32_e32 v16, v4, v16
	v_fma_f32 v18, v48, s12, -v88
	;; [unrolled: 2-line block ×5, first 2 shown]
	v_fmac_f32_e32 v92, 0xbf7d64f0, v30
	v_add_f32_e32 v16, v18, v16
	v_add_f32_e32 v18, v5, v92
	v_fmac_f32_e32 v93, 0x3e903f40, v28
	v_add_f32_e32 v18, v93, v18
	v_fmac_f32_e32 v94, 0x3f68dda4, v36
	;; [unrolled: 2-line block ×4, first 2 shown]
	v_add_f32_e32 v19, v96, v18
	v_fma_f32 v18, v34, s12, -v97
	v_add_f32_e32 v18, v4, v18
	v_fma_f32 v20, v48, s4, -v98
	v_add_f32_e32 v18, v20, v18
	v_fma_f32 v20, v51, s7, -v99
	v_add_f32_e32 v18, v20, v18
	v_fma_f32 v20, v73, s5, -v100
	v_add_f32_e32 v18, v20, v18
	v_fma_f32 v20, v79, s6, -v101
	v_fmac_f32_e32 v102, 0xbf68dda4, v30
	v_add_f32_e32 v18, v20, v18
	v_add_f32_e32 v20, v5, v102
	v_fmac_f32_e32 v103, 0xbf4178ce, v28
	v_add_f32_e32 v20, v103, v20
	v_fmac_f32_e32 v104, 0x3e903f40, v36
	;; [unrolled: 2-line block ×4, first 2 shown]
	v_add_f32_e32 v21, v106, v20
	v_fma_f32 v20, v34, s7, -v107
	v_fmac_f32_e32 v44, 0xbf0a6770, v30
	v_fmac_f32_e32 v113, 0xbf4178ce, v22
	v_fma_f32 v22, v34, s5, -v114
	v_add_f32_e32 v20, v4, v20
	v_fma_f32 v23, v48, s6, -v108
	v_add_f32_e32 v5, v5, v44
	v_fmac_f32_e32 v41, 0xbf68dda4, v28
	v_add_f32_e32 v4, v4, v22
	v_fma_f32 v22, v48, s7, -v49
	v_add_f32_e32 v12, v26, v12
	v_add_f32_e32 v20, v23, v20
	v_fma_f32 v23, v51, s4, -v109
	v_add_f32_e32 v5, v41, v5
	v_fmac_f32_e32 v43, 0xbf7d64f0, v36
	v_add_f32_e32 v4, v22, v4
	v_fma_f32 v22, v51, s12, -v71
	v_add_f32_e32 v12, v24, v12
	v_add_f32_e32 v20, v23, v20
	v_fma_f32 v23, v73, s12, -v110
	v_add_f32_e32 v5, v43, v5
	;; [unrolled: 3-line block ×3, first 2 shown]
	v_fma_f32 v23, v79, s5, -v111
	v_add_f32_e32 v5, v113, v5
	v_fmac_f32_e32 v112, 0xbe903f40, v33
	v_add_f32_e32 v4, v22, v4
	v_fma_f32 v22, v79, s4, -v80
	ds_write_b64 v75, v[12:13]
	v_lshl_add_u32 v12, v76, 3, v77
	v_add_f32_e32 v20, v23, v20
	v_add_f32_e32 v5, v112, v5
	;; [unrolled: 1-line block ×3, first 2 shown]
	ds_write2_b64 v12, v[10:11], v[8:9] offset0:27 offset1:54
	ds_write2_b64 v12, v[6:7], v[2:3] offset0:81 offset1:108
	;; [unrolled: 1-line block ×4, first 2 shown]
	v_add_u32_e32 v0, 0x400, v12
	ds_write2_b64 v0, v[20:21], v[4:5] offset0:115 offset1:142
.LBB0_9:
	s_or_b64 exec, exec, s[0:1]
	s_waitcnt lgkmcnt(0)
	s_barrier
	ds_read2_b64 v[0:3], v75 offset1:33
	v_mad_u64_u32 v[4:5], s[0:1], s10, v56, 0
	s_mov_b32 s0, 0x2b18ff23
	s_mov_b32 s1, 0x3f6b951e
	s_waitcnt lgkmcnt(0)
	v_mul_f32_e32 v6, v70, v1
	v_fmac_f32_e32 v6, v69, v0
	v_cvt_f64_f32_e32 v[6:7], v6
	v_mul_f32_e32 v0, v70, v0
	v_fma_f32 v0, v69, v1, -v0
	v_cvt_f64_f32_e32 v[0:1], v0
	v_mul_f64 v[6:7], v[6:7], s[0:1]
	v_mad_u64_u32 v[8:9], s[4:5], s8, v76, 0
	v_mul_f64 v[0:1], v[0:1], s[0:1]
	v_mad_u64_u32 v[10:11], s[4:5], s11, v56, v[5:6]
	v_mov_b32_e32 v5, v9
	v_mad_u64_u32 v[11:12], s[4:5], s9, v76, v[5:6]
	v_mov_b32_e32 v5, v10
	v_cvt_f32_f64_e32 v6, v[6:7]
	v_cvt_f32_f64_e32 v7, v[0:1]
	v_lshlrev_b64 v[0:1], 3, v[4:5]
	v_mul_f32_e32 v4, v68, v3
	v_fmac_f32_e32 v4, v67, v2
	v_mul_f32_e32 v2, v68, v2
	v_fma_f32 v2, v67, v3, -v2
	v_mov_b32_e32 v9, v11
	v_mov_b32_e32 v10, s3
	v_cvt_f64_f32_e32 v[2:3], v2
	v_add_co_u32_e32 v11, vcc, s2, v0
	v_addc_co_u32_e32 v12, vcc, v10, v1, vcc
	v_lshlrev_b64 v[0:1], 3, v[8:9]
	v_mul_f64 v[8:9], v[2:3], s[0:1]
	v_add_co_u32_e32 v10, vcc, v11, v0
	v_addc_co_u32_e32 v11, vcc, v12, v1, vcc
	ds_read2_b64 v[0:3], v75 offset0:66 offset1:99
	v_cvt_f64_f32_e32 v[4:5], v4
	global_store_dwordx2 v[10:11], v[6:7], off
	s_mul_i32 s2, s9, 0x108
	s_mul_hi_u32 s3, s8, 0x108
	s_waitcnt lgkmcnt(0)
	v_mul_f32_e32 v6, v66, v1
	v_fmac_f32_e32 v6, v65, v0
	v_mul_f32_e32 v0, v66, v0
	v_fma_f32 v0, v65, v1, -v0
	v_mul_f64 v[4:5], v[4:5], s[0:1]
	v_cvt_f64_f32_e32 v[0:1], v0
	v_cvt_f64_f32_e32 v[6:7], v6
	s_add_i32 s2, s3, s2
	s_mul_i32 s3, s8, 0x108
	v_mul_f64 v[0:1], v[0:1], s[0:1]
	v_mul_f64 v[6:7], v[6:7], s[0:1]
	v_mov_b32_e32 v12, s2
	v_cvt_f32_f64_e32 v4, v[4:5]
	v_cvt_f32_f64_e32 v5, v[8:9]
	v_mov_b32_e32 v9, s2
	v_add_co_u32_e32 v8, vcc, s3, v10
	v_addc_co_u32_e32 v9, vcc, v11, v9, vcc
	global_store_dwordx2 v[8:9], v[4:5], off
	v_cvt_f32_f64_e32 v5, v[0:1]
	v_mul_f32_e32 v0, v62, v3
	v_fmac_f32_e32 v0, v61, v2
	v_cvt_f32_f64_e32 v4, v[6:7]
	v_cvt_f64_f32_e32 v[6:7], v0
	v_mul_f32_e32 v0, v62, v2
	v_fma_f32 v0, v61, v3, -v0
	v_cvt_f64_f32_e32 v[10:11], v0
	ds_read2_b64 v[0:3], v75 offset0:132 offset1:165
	v_add_co_u32_e32 v8, vcc, s3, v8
	v_addc_co_u32_e32 v9, vcc, v9, v12, vcc
	global_store_dwordx2 v[8:9], v[4:5], off
	v_mul_f64 v[4:5], v[6:7], s[0:1]
	v_mul_f64 v[6:7], v[10:11], s[0:1]
	s_waitcnt lgkmcnt(0)
	v_mul_f32_e32 v10, v64, v1
	v_fmac_f32_e32 v10, v63, v0
	v_mul_f32_e32 v0, v64, v0
	v_fma_f32 v0, v63, v1, -v0
	v_cvt_f64_f32_e32 v[0:1], v0
	v_cvt_f64_f32_e32 v[10:11], v10
	v_cvt_f32_f64_e32 v4, v[4:5]
	v_cvt_f32_f64_e32 v5, v[6:7]
	v_mul_f64 v[0:1], v[0:1], s[0:1]
	v_mul_f64 v[6:7], v[10:11], s[0:1]
	v_mov_b32_e32 v10, s2
	v_add_co_u32_e32 v8, vcc, s3, v8
	v_addc_co_u32_e32 v9, vcc, v9, v10, vcc
	global_store_dwordx2 v[8:9], v[4:5], off
	v_cvt_f32_f64_e32 v5, v[0:1]
	v_mul_f32_e32 v0, v58, v3
	v_fmac_f32_e32 v0, v57, v2
	v_cvt_f32_f64_e32 v4, v[6:7]
	v_cvt_f64_f32_e32 v[6:7], v0
	v_mul_f32_e32 v0, v58, v2
	v_fma_f32 v0, v57, v3, -v0
	v_cvt_f64_f32_e32 v[10:11], v0
	ds_read2_b64 v[0:3], v75 offset0:198 offset1:231
	v_add_co_u32_e32 v8, vcc, s3, v8
	v_addc_co_u32_e32 v9, vcc, v9, v12, vcc
	global_store_dwordx2 v[8:9], v[4:5], off
	v_mul_f64 v[4:5], v[6:7], s[0:1]
	v_mul_f64 v[6:7], v[10:11], s[0:1]
	s_waitcnt lgkmcnt(0)
	v_mul_f32_e32 v10, v60, v1
	v_fmac_f32_e32 v10, v59, v0
	v_mul_f32_e32 v0, v60, v0
	v_fma_f32 v0, v59, v1, -v0
	v_cvt_f64_f32_e32 v[0:1], v0
	v_cvt_f64_f32_e32 v[10:11], v10
	v_cvt_f32_f64_e32 v4, v[4:5]
	v_cvt_f32_f64_e32 v5, v[6:7]
	v_mul_f64 v[0:1], v[0:1], s[0:1]
	v_mul_f64 v[6:7], v[10:11], s[0:1]
	v_mov_b32_e32 v10, s2
	v_add_co_u32_e32 v8, vcc, s3, v8
	v_addc_co_u32_e32 v9, vcc, v9, v10, vcc
	global_store_dwordx2 v[8:9], v[4:5], off
	v_cvt_f32_f64_e32 v5, v[0:1]
	v_mul_f32_e32 v0, v55, v3
	v_fmac_f32_e32 v0, v54, v2
	v_mul_f32_e32 v2, v55, v2
	v_fma_f32 v2, v54, v3, -v2
	v_cvt_f32_f64_e32 v4, v[6:7]
	v_cvt_f64_f32_e32 v[0:1], v0
	v_cvt_f64_f32_e32 v[2:3], v2
	ds_read_b64 v[6:7], v75 offset:2112
	v_add_co_u32_e32 v8, vcc, s3, v8
	v_addc_co_u32_e32 v9, vcc, v9, v10, vcc
	v_mul_f64 v[0:1], v[0:1], s[0:1]
	v_mul_f64 v[2:3], v[2:3], s[0:1]
	global_store_dwordx2 v[8:9], v[4:5], off
	s_waitcnt lgkmcnt(0)
	v_mul_f32_e32 v4, v53, v7
	v_fmac_f32_e32 v4, v52, v6
	v_mul_f32_e32 v6, v53, v6
	v_fma_f32 v6, v52, v7, -v6
	v_cvt_f64_f32_e32 v[4:5], v4
	v_cvt_f64_f32_e32 v[6:7], v6
	v_cvt_f32_f64_e32 v0, v[0:1]
	v_cvt_f32_f64_e32 v1, v[2:3]
	v_mul_f64 v[2:3], v[4:5], s[0:1]
	v_mul_f64 v[4:5], v[6:7], s[0:1]
	v_mov_b32_e32 v7, s2
	v_add_co_u32_e32 v6, vcc, s3, v8
	v_addc_co_u32_e32 v7, vcc, v9, v7, vcc
	global_store_dwordx2 v[6:7], v[0:1], off
	v_cvt_f32_f64_e32 v0, v[2:3]
	v_cvt_f32_f64_e32 v1, v[4:5]
	v_mov_b32_e32 v3, s2
	v_add_co_u32_e32 v2, vcc, s3, v6
	v_addc_co_u32_e32 v3, vcc, v7, v3, vcc
	global_store_dwordx2 v[2:3], v[0:1], off
.LBB0_10:
	s_endpgm
	.section	.rodata,"a",@progbits
	.p2align	6, 0x0
	.amdhsa_kernel bluestein_single_fwd_len297_dim1_sp_op_CI_CI
		.amdhsa_group_segment_fixed_size 16632
		.amdhsa_private_segment_fixed_size 0
		.amdhsa_kernarg_size 104
		.amdhsa_user_sgpr_count 6
		.amdhsa_user_sgpr_private_segment_buffer 1
		.amdhsa_user_sgpr_dispatch_ptr 0
		.amdhsa_user_sgpr_queue_ptr 0
		.amdhsa_user_sgpr_kernarg_segment_ptr 1
		.amdhsa_user_sgpr_dispatch_id 0
		.amdhsa_user_sgpr_flat_scratch_init 0
		.amdhsa_user_sgpr_private_segment_size 0
		.amdhsa_uses_dynamic_stack 0
		.amdhsa_system_sgpr_private_segment_wavefront_offset 0
		.amdhsa_system_sgpr_workgroup_id_x 1
		.amdhsa_system_sgpr_workgroup_id_y 0
		.amdhsa_system_sgpr_workgroup_id_z 0
		.amdhsa_system_sgpr_workgroup_info 0
		.amdhsa_system_vgpr_workitem_id 0
		.amdhsa_next_free_vgpr 176
		.amdhsa_next_free_sgpr 20
		.amdhsa_reserve_vcc 1
		.amdhsa_reserve_flat_scratch 0
		.amdhsa_float_round_mode_32 0
		.amdhsa_float_round_mode_16_64 0
		.amdhsa_float_denorm_mode_32 3
		.amdhsa_float_denorm_mode_16_64 3
		.amdhsa_dx10_clamp 1
		.amdhsa_ieee_mode 1
		.amdhsa_fp16_overflow 0
		.amdhsa_exception_fp_ieee_invalid_op 0
		.amdhsa_exception_fp_denorm_src 0
		.amdhsa_exception_fp_ieee_div_zero 0
		.amdhsa_exception_fp_ieee_overflow 0
		.amdhsa_exception_fp_ieee_underflow 0
		.amdhsa_exception_fp_ieee_inexact 0
		.amdhsa_exception_int_div_zero 0
	.end_amdhsa_kernel
	.text
.Lfunc_end0:
	.size	bluestein_single_fwd_len297_dim1_sp_op_CI_CI, .Lfunc_end0-bluestein_single_fwd_len297_dim1_sp_op_CI_CI
                                        ; -- End function
	.section	.AMDGPU.csdata,"",@progbits
; Kernel info:
; codeLenInByte = 9432
; NumSgprs: 24
; NumVgprs: 176
; ScratchSize: 0
; MemoryBound: 0
; FloatMode: 240
; IeeeMode: 1
; LDSByteSize: 16632 bytes/workgroup (compile time only)
; SGPRBlocks: 2
; VGPRBlocks: 43
; NumSGPRsForWavesPerEU: 24
; NumVGPRsForWavesPerEU: 176
; Occupancy: 1
; WaveLimiterHint : 1
; COMPUTE_PGM_RSRC2:SCRATCH_EN: 0
; COMPUTE_PGM_RSRC2:USER_SGPR: 6
; COMPUTE_PGM_RSRC2:TRAP_HANDLER: 0
; COMPUTE_PGM_RSRC2:TGID_X_EN: 1
; COMPUTE_PGM_RSRC2:TGID_Y_EN: 0
; COMPUTE_PGM_RSRC2:TGID_Z_EN: 0
; COMPUTE_PGM_RSRC2:TIDIG_COMP_CNT: 0
	.type	__hip_cuid_8e32e8a11775d8d1,@object ; @__hip_cuid_8e32e8a11775d8d1
	.section	.bss,"aw",@nobits
	.globl	__hip_cuid_8e32e8a11775d8d1
__hip_cuid_8e32e8a11775d8d1:
	.byte	0                               ; 0x0
	.size	__hip_cuid_8e32e8a11775d8d1, 1

	.ident	"AMD clang version 19.0.0git (https://github.com/RadeonOpenCompute/llvm-project roc-6.4.0 25133 c7fe45cf4b819c5991fe208aaa96edf142730f1d)"
	.section	".note.GNU-stack","",@progbits
	.addrsig
	.addrsig_sym __hip_cuid_8e32e8a11775d8d1
	.amdgpu_metadata
---
amdhsa.kernels:
  - .args:
      - .actual_access:  read_only
        .address_space:  global
        .offset:         0
        .size:           8
        .value_kind:     global_buffer
      - .actual_access:  read_only
        .address_space:  global
        .offset:         8
        .size:           8
        .value_kind:     global_buffer
      - .actual_access:  read_only
        .address_space:  global
        .offset:         16
        .size:           8
        .value_kind:     global_buffer
      - .actual_access:  read_only
        .address_space:  global
        .offset:         24
        .size:           8
        .value_kind:     global_buffer
      - .actual_access:  read_only
        .address_space:  global
        .offset:         32
        .size:           8
        .value_kind:     global_buffer
      - .offset:         40
        .size:           8
        .value_kind:     by_value
      - .address_space:  global
        .offset:         48
        .size:           8
        .value_kind:     global_buffer
      - .address_space:  global
        .offset:         56
        .size:           8
        .value_kind:     global_buffer
      - .address_space:  global
        .offset:         64
        .size:           8
        .value_kind:     global_buffer
      - .address_space:  global
        .offset:         72
        .size:           8
        .value_kind:     global_buffer
      - .offset:         80
        .size:           4
        .value_kind:     by_value
      - .address_space:  global
        .offset:         88
        .size:           8
        .value_kind:     global_buffer
      - .address_space:  global
        .offset:         96
        .size:           8
        .value_kind:     global_buffer
    .group_segment_fixed_size: 16632
    .kernarg_segment_align: 8
    .kernarg_segment_size: 104
    .language:       OpenCL C
    .language_version:
      - 2
      - 0
    .max_flat_workgroup_size: 231
    .name:           bluestein_single_fwd_len297_dim1_sp_op_CI_CI
    .private_segment_fixed_size: 0
    .sgpr_count:     24
    .sgpr_spill_count: 0
    .symbol:         bluestein_single_fwd_len297_dim1_sp_op_CI_CI.kd
    .uniform_work_group_size: 1
    .uses_dynamic_stack: false
    .vgpr_count:     176
    .vgpr_spill_count: 0
    .wavefront_size: 64
amdhsa.target:   amdgcn-amd-amdhsa--gfx906
amdhsa.version:
  - 1
  - 2
...

	.end_amdgpu_metadata
